;; amdgpu-corpus repo=ROCm/rocFFT kind=compiled arch=gfx906 opt=O3
	.text
	.amdgcn_target "amdgcn-amd-amdhsa--gfx906"
	.amdhsa_code_object_version 6
	.protected	bluestein_single_back_len50_dim1_sp_op_CI_CI ; -- Begin function bluestein_single_back_len50_dim1_sp_op_CI_CI
	.globl	bluestein_single_back_len50_dim1_sp_op_CI_CI
	.p2align	8
	.type	bluestein_single_back_len50_dim1_sp_op_CI_CI,@function
bluestein_single_back_len50_dim1_sp_op_CI_CI: ; @bluestein_single_back_len50_dim1_sp_op_CI_CI
; %bb.0:
	v_mul_u32_u24_e32 v1, 0x199a, v0
	s_load_dwordx4 s[0:3], s[4:5], 0x28
	v_lshrrev_b32_e32 v1, 16, v1
	v_mad_u64_u32 v[28:29], s[6:7], s6, 25, v[1:2]
	v_mov_b32_e32 v29, 0
	s_waitcnt lgkmcnt(0)
	v_cmp_gt_u64_e32 vcc, s[0:1], v[28:29]
	s_and_saveexec_b64 s[0:1], vcc
	s_cbranch_execz .LBB0_15
; %bb.1:
	s_mov_b32 s0, 0x51eb851f
	v_mul_hi_u32 v2, v28, s0
	s_load_dwordx2 s[6:7], s[4:5], 0x0
	s_load_dwordx2 s[12:13], s[4:5], 0x38
	v_mul_lo_u16_e32 v1, 10, v1
	v_sub_u16_e32 v31, v0, v1
	v_lshrrev_b32_e32 v2, 3, v2
	v_mul_lo_u32 v2, v2, 25
	v_cmp_gt_u16_e32 vcc, 5, v31
	v_lshlrev_b32_e32 v30, 3, v31
	v_or_b32_e32 v29, 40, v31
	v_sub_u32_e32 v0, v28, v2
	v_mul_u32_u24_e32 v32, 50, v0
	v_lshlrev_b32_e32 v33, 3, v32
	s_and_saveexec_b64 s[14:15], vcc
	s_cbranch_execz .LBB0_3
; %bb.2:
	s_load_dwordx2 s[0:1], s[4:5], 0x18
	v_lshl_add_u32 v48, v31, 3, v33
	v_add_u32_e32 v49, v33, v30
	s_waitcnt lgkmcnt(0)
	s_load_dwordx4 s[8:11], s[0:1], 0x0
	global_load_dwordx2 v[8:9], v30, s[6:7]
	global_load_dwordx2 v[10:11], v30, s[6:7] offset:40
	global_load_dwordx2 v[12:13], v30, s[6:7] offset:80
	;; [unrolled: 1-line block ×3, first 2 shown]
	s_waitcnt lgkmcnt(0)
	v_mad_u64_u32 v[0:1], s[0:1], s10, v28, 0
	v_mad_u64_u32 v[2:3], s[0:1], s8, v31, 0
	;; [unrolled: 1-line block ×4, first 2 shown]
	v_mov_b32_e32 v1, v4
	v_lshlrev_b64 v[0:1], 3, v[0:1]
	v_mov_b32_e32 v3, v5
	v_mov_b32_e32 v6, s3
	v_lshlrev_b64 v[2:3], 3, v[2:3]
	v_add_co_u32_e64 v26, s[0:1], s2, v0
	v_addc_co_u32_e64 v27, s[0:1], v6, v1, s[0:1]
	v_add_co_u32_e64 v0, s[0:1], v26, v2
	v_addc_co_u32_e64 v1, s[0:1], v27, v3, s[0:1]
	s_mul_i32 s0, s9, 40
	s_mul_hi_u32 s1, s8, 40
	s_add_i32 s2, s1, s0
	s_mul_i32 s3, s8, 40
	v_mov_b32_e32 v3, s2
	v_add_co_u32_e64 v2, s[0:1], s3, v0
	v_addc_co_u32_e64 v3, s[0:1], v1, v3, s[0:1]
	v_mov_b32_e32 v5, s2
	v_add_co_u32_e64 v4, s[0:1], s3, v2
	v_addc_co_u32_e64 v5, s[0:1], v3, v5, s[0:1]
	v_mov_b32_e32 v7, s2
	v_add_co_u32_e64 v6, s[0:1], s3, v4
	v_addc_co_u32_e64 v7, s[0:1], v5, v7, s[0:1]
	v_mad_u64_u32 v[16:17], s[0:1], s8, v29, 0
	global_load_dwordx2 v[18:19], v[0:1], off
	global_load_dwordx2 v[20:21], v[2:3], off
	;; [unrolled: 1-line block ×4, first 2 shown]
	v_mov_b32_e32 v3, s2
	v_mov_b32_e32 v0, v17
	v_mad_u64_u32 v[0:1], s[0:1], s9, v29, v[0:1]
	v_mov_b32_e32 v34, s2
	v_mov_b32_e32 v35, s2
	v_mov_b32_e32 v17, v0
	v_lshlrev_b64 v[0:1], 3, v[16:17]
	v_mov_b32_e32 v38, s2
	v_add_co_u32_e64 v0, s[0:1], v26, v0
	v_addc_co_u32_e64 v1, s[0:1], v27, v1, s[0:1]
	v_add_co_u32_e64 v2, s[0:1], s3, v6
	v_addc_co_u32_e64 v3, s[0:1], v7, v3, s[0:1]
	global_load_dwordx2 v[4:5], v[2:3], off
	v_add_co_u32_e64 v2, s[0:1], s3, v2
	v_addc_co_u32_e64 v3, s[0:1], v3, v34, s[0:1]
	global_load_dwordx2 v[6:7], v[2:3], off
	global_load_dwordx2 v[16:17], v30, s[6:7] offset:160
	v_add_co_u32_e64 v2, s[0:1], s3, v2
	v_addc_co_u32_e64 v3, s[0:1], v3, v35, s[0:1]
	global_load_dwordx2 v[26:27], v30, s[6:7] offset:200
	global_load_dwordx2 v[34:35], v[2:3], off
	global_load_dwordx2 v[36:37], v30, s[6:7] offset:240
	v_add_co_u32_e64 v2, s[0:1], s3, v2
	v_addc_co_u32_e64 v3, s[0:1], v3, v38, s[0:1]
	global_load_dwordx2 v[38:39], v[2:3], off
	global_load_dwordx2 v[40:41], v30, s[6:7] offset:280
	global_load_dwordx2 v[42:43], v[0:1], off
	v_mov_b32_e32 v0, 0x50
	v_mad_u64_u32 v[0:1], s[0:1], s8, v0, v[2:3]
	global_load_dwordx2 v[2:3], v30, s[6:7] offset:320
	s_mul_i32 s0, s9, 0x50
	v_add_u32_e32 v1, s0, v1
	global_load_dwordx2 v[44:45], v30, s[6:7] offset:360
	global_load_dwordx2 v[46:47], v[0:1], off
	s_waitcnt vmcnt(15)
	v_mul_f32_e32 v1, v18, v9
	v_mul_f32_e32 v0, v19, v9
	v_fma_f32 v1, v19, v8, -v1
	v_fmac_f32_e32 v0, v18, v8
	ds_write_b64 v48, v[0:1]
	s_waitcnt vmcnt(14)
	v_mul_f32_e32 v0, v20, v11
	v_mul_f32_e32 v8, v21, v11
	v_fma_f32 v9, v21, v10, -v0
	s_waitcnt vmcnt(13)
	v_mul_f32_e32 v0, v23, v13
	v_mul_f32_e32 v1, v22, v13
	v_fmac_f32_e32 v8, v20, v10
	v_fmac_f32_e32 v0, v22, v12
	v_fma_f32 v1, v23, v12, -v1
	s_waitcnt vmcnt(12)
	v_mul_f32_e32 v10, v25, v15
	v_mul_f32_e32 v11, v24, v15
	ds_write2_b64 v49, v[8:9], v[0:1] offset0:5 offset1:10
	v_fmac_f32_e32 v10, v24, v14
	v_fma_f32 v11, v25, v14, -v11
	s_waitcnt vmcnt(9)
	v_mul_f32_e32 v0, v5, v17
	v_mul_f32_e32 v1, v4, v17
	v_fmac_f32_e32 v0, v4, v16
	v_fma_f32 v1, v5, v16, -v1
	ds_write2_b64 v49, v[10:11], v[0:1] offset0:15 offset1:20
	s_waitcnt vmcnt(8)
	v_mul_f32_e32 v0, v7, v27
	v_mul_f32_e32 v1, v6, v27
	s_waitcnt vmcnt(6)
	v_mul_f32_e32 v4, v35, v37
	v_mul_f32_e32 v5, v34, v37
	v_fmac_f32_e32 v0, v6, v26
	v_fma_f32 v1, v7, v26, -v1
	v_fmac_f32_e32 v4, v34, v36
	v_fma_f32 v5, v35, v36, -v5
	ds_write2_b64 v49, v[0:1], v[4:5] offset0:25 offset1:30
	s_waitcnt vmcnt(4)
	v_mul_f32_e32 v0, v39, v41
	v_mul_f32_e32 v1, v38, v41
	s_waitcnt vmcnt(2)
	v_mul_f32_e32 v4, v43, v3
	v_mul_f32_e32 v3, v42, v3
	v_fmac_f32_e32 v0, v38, v40
	v_fma_f32 v1, v39, v40, -v1
	v_fmac_f32_e32 v4, v42, v2
	v_fma_f32 v5, v43, v2, -v3
	ds_write2_b64 v49, v[0:1], v[4:5] offset0:35 offset1:40
	s_waitcnt vmcnt(0)
	v_mul_f32_e32 v0, v47, v45
	v_mul_f32_e32 v1, v46, v45
	v_fmac_f32_e32 v0, v46, v44
	v_fma_f32 v1, v47, v44, -v1
	ds_write_b64 v49, v[0:1] offset:360
.LBB0_3:
	s_or_b64 exec, exec, s[14:15]
	s_load_dwordx2 s[0:1], s[4:5], 0x20
	s_load_dwordx2 s[8:9], s[4:5], 0x8
	s_waitcnt lgkmcnt(0)
	s_barrier
	s_waitcnt lgkmcnt(0)
                                        ; implicit-def: $vgpr3
                                        ; implicit-def: $vgpr4
                                        ; implicit-def: $vgpr16
                                        ; implicit-def: $vgpr8
                                        ; implicit-def: $vgpr12
	s_and_saveexec_b64 s[2:3], vcc
	s_cbranch_execz .LBB0_5
; %bb.4:
	v_lshl_add_u32 v12, v32, 3, v30
	ds_read2_b64 v[0:3], v12 offset1:5
	ds_read2_b64 v[4:7], v12 offset0:10 offset1:15
	ds_read2_b64 v[16:19], v12 offset0:20 offset1:25
	;; [unrolled: 1-line block ×4, first 2 shown]
.LBB0_5:
	s_or_b64 exec, exec, s[2:3]
	s_waitcnt lgkmcnt(3)
	v_add_f32_e32 v20, v0, v4
	s_waitcnt lgkmcnt(2)
	v_add_f32_e32 v24, v20, v16
	;; [unrolled: 2-line block ×3, first 2 shown]
	v_sub_f32_e32 v21, v4, v16
	s_waitcnt lgkmcnt(0)
	v_sub_f32_e32 v42, v12, v8
	v_add_f32_e32 v42, v21, v42
	v_fma_f32 v21, -0.5, v20, v0
	v_sub_f32_e32 v43, v5, v13
	v_mov_b32_e32 v20, v21
	v_sub_f32_e32 v23, v17, v9
	v_fmac_f32_e32 v20, 0x3f737871, v43
	v_fmac_f32_e32 v21, 0xbf737871, v43
	;; [unrolled: 1-line block ×6, first 2 shown]
	v_add_f32_e32 v42, v4, v12
	v_sub_f32_e32 v22, v16, v4
	v_fmac_f32_e32 v0, -0.5, v42
	v_sub_f32_e32 v42, v8, v12
	v_add_f32_e32 v42, v22, v42
	v_mov_b32_e32 v22, v0
	v_add_f32_e32 v25, v1, v5
	v_add_f32_e32 v26, v17, v9
	v_sub_f32_e32 v27, v5, v17
	v_fmac_f32_e32 v22, 0xbf737871, v23
	v_fmac_f32_e32 v0, 0x3f737871, v23
	v_sub_f32_e32 v23, v13, v9
	v_add_f32_e32 v25, v25, v17
	v_sub_f32_e32 v17, v17, v5
	v_add_f32_e32 v27, v27, v23
	v_fma_f32 v23, -0.5, v26, v1
	v_add_f32_e32 v5, v5, v13
	v_sub_f32_e32 v26, v4, v12
	v_mov_b32_e32 v4, v23
	v_fmac_f32_e32 v1, -0.5, v5
	v_sub_f32_e32 v5, v9, v13
	v_sub_f32_e32 v16, v16, v8
	v_add_f32_e32 v35, v18, v10
	v_fmac_f32_e32 v4, 0xbf737871, v26
	v_fmac_f32_e32 v23, 0x3f737871, v26
	v_add_f32_e32 v17, v17, v5
	v_mov_b32_e32 v5, v1
	v_fmac_f32_e32 v4, 0xbf167918, v16
	v_fmac_f32_e32 v23, 0x3f167918, v16
	;; [unrolled: 1-line block ×4, first 2 shown]
	v_fma_f32 v16, -0.5, v35, v2
	v_fmac_f32_e32 v5, 0xbf167918, v26
	v_fmac_f32_e32 v1, 0x3f167918, v26
	v_sub_f32_e32 v26, v7, v15
	v_mov_b32_e32 v35, v16
	v_sub_f32_e32 v36, v19, v11
	v_sub_f32_e32 v37, v6, v18
	v_fmac_f32_e32 v5, 0x3e9e377a, v17
	v_fmac_f32_e32 v1, 0x3e9e377a, v17
	v_sub_f32_e32 v17, v14, v10
	v_fmac_f32_e32 v35, 0x3f737871, v26
	v_fmac_f32_e32 v16, 0xbf737871, v26
	v_add_f32_e32 v17, v37, v17
	v_fmac_f32_e32 v35, 0x3f167918, v36
	v_fmac_f32_e32 v16, 0xbf167918, v36
	v_add_f32_e32 v34, v2, v6
	;; [unrolled: 3-line block ×3, first 2 shown]
	v_add_f32_e32 v34, v34, v18
	v_add_f32_e32 v38, v3, v7
	v_fmac_f32_e32 v2, -0.5, v17
	v_add_f32_e32 v8, v24, v8
	v_add_f32_e32 v38, v38, v19
	v_mov_b32_e32 v37, v2
	v_add_f32_e32 v24, v8, v12
	v_add_f32_e32 v8, v25, v9
	;; [unrolled: 1-line block ×4, first 2 shown]
	v_fmac_f32_e32 v37, 0xbf737871, v36
	v_fmac_f32_e32 v2, 0x3f737871, v36
	v_add_f32_e32 v25, v9, v14
	v_add_f32_e32 v9, v38, v11
	v_fmac_f32_e32 v37, 0x3f167918, v26
	v_fmac_f32_e32 v2, 0xbf167918, v26
	v_add_f32_e32 v26, v9, v15
	v_fma_f32 v9, -0.5, v40, v3
	v_sub_f32_e32 v39, v18, v6
	v_sub_f32_e32 v6, v6, v14
	v_mov_b32_e32 v12, v9
	v_sub_f32_e32 v18, v18, v10
	v_sub_f32_e32 v41, v7, v19
	;; [unrolled: 1-line block ×5, first 2 shown]
	v_fmac_f32_e32 v12, 0xbf737871, v6
	v_fmac_f32_e32 v9, 0x3f737871, v6
	v_add_f32_e32 v7, v7, v15
	v_add_f32_e32 v10, v41, v10
	v_fmac_f32_e32 v12, 0xbf167918, v18
	v_fmac_f32_e32 v9, 0x3f167918, v18
	v_fmac_f32_e32 v3, -0.5, v7
	v_fmac_f32_e32 v12, 0x3e9e377a, v10
	v_fmac_f32_e32 v9, 0x3e9e377a, v10
	v_mov_b32_e32 v10, v3
	v_add_f32_e32 v17, v39, v17
	v_fmac_f32_e32 v10, 0x3f737871, v18
	v_sub_f32_e32 v7, v11, v15
	v_fmac_f32_e32 v3, 0xbf737871, v18
	v_fmac_f32_e32 v2, 0x3e9e377a, v17
	v_fmac_f32_e32 v10, 0xbf167918, v6
	v_add_f32_e32 v7, v19, v7
	v_fmac_f32_e32 v3, 0x3f167918, v6
	s_mov_b32 s2, 0x3f737871
	v_fmac_f32_e32 v10, 0x3e9e377a, v7
	v_fmac_f32_e32 v3, 0x3e9e377a, v7
	v_mul_f32_e32 v11, 0x3e9e377a, v2
	v_fmac_f32_e32 v4, 0x3e9e377a, v27
	v_fmac_f32_e32 v23, 0x3e9e377a, v27
	s_mov_b32 s4, 0xbf737871
	v_fmac_f32_e32 v37, 0x3e9e377a, v17
	v_mul_f32_e32 v7, 0x3f737871, v10
	v_fma_f32 v27, v3, s2, -v11
	v_mul_f32_e32 v3, 0x3e9e377a, v3
	v_fmac_f32_e32 v22, 0x3f167918, v43
	v_fmac_f32_e32 v0, 0xbf167918, v43
	s_mov_b32 s3, 0x3f167918
	s_mov_b32 s5, 0xbf167918
	v_mul_f32_e32 v6, 0x3f4f1bbd, v35
	v_fmac_f32_e32 v7, 0x3e9e377a, v37
	v_mul_f32_e32 v11, 0x3f4f1bbd, v16
	v_mul_f32_e32 v36, 0xbf167918, v35
	v_mul_f32_e32 v37, 0xbf737871, v37
	v_fma_f32 v2, v2, s4, -v3
	v_mul_f32_e32 v3, 0x3f4f1bbd, v9
	v_fmac_f32_e32 v22, 0x3e9e377a, v42
	v_fmac_f32_e32 v0, 0x3e9e377a, v42
	v_add_f32_e32 v8, v8, v13
	v_fmac_f32_e32 v6, 0x3f167918, v12
	v_fma_f32 v34, v9, s3, -v11
	v_fmac_f32_e32 v36, 0x3f4f1bbd, v12
	v_fmac_f32_e32 v37, 0x3e9e377a, v10
	v_fma_f32 v3, v16, s5, -v3
	v_sub_f32_e32 v10, v24, v25
	v_sub_f32_e32 v12, v20, v6
	v_sub_f32_e32 v14, v22, v7
	v_sub_f32_e32 v16, v0, v27
	v_sub_f32_e32 v18, v21, v34
	v_sub_f32_e32 v11, v8, v26
	v_sub_f32_e32 v13, v4, v36
	v_sub_f32_e32 v15, v5, v37
	v_sub_f32_e32 v17, v1, v2
	v_sub_f32_e32 v19, v23, v3
	v_mul_lo_u16_e32 v35, 10, v31
	s_barrier
	s_and_saveexec_b64 s[2:3], vcc
	s_cbranch_execz .LBB0_7
; %bb.6:
	v_add_f32_e32 v9, v23, v3
	v_add_f32_e32 v3, v1, v2
	;; [unrolled: 1-line block ×7, first 2 shown]
	v_add_lshl_u32 v4, v32, v35, 3
	v_add_f32_e32 v8, v21, v34
	v_add_f32_e32 v2, v0, v27
	;; [unrolled: 1-line block ×3, first 2 shown]
	ds_write_b128 v4, v[36:39]
	ds_write_b128 v4, v[0:3] offset:16
	ds_write_b128 v4, v[8:11] offset:32
	;; [unrolled: 1-line block ×4, first 2 shown]
.LBB0_7:
	s_or_b64 exec, exec, s[2:3]
	v_lshlrev_b32_e32 v8, 5, v31
	s_load_dwordx4 s[0:3], s[0:1], 0x0
	s_waitcnt lgkmcnt(0)
	s_barrier
	global_load_dwordx4 v[4:7], v8, s[8:9]
	global_load_dwordx4 v[0:3], v8, s[8:9] offset:16
	v_add_lshl_u32 v36, v32, v31, 3
	ds_read2_b64 v[20:23], v36 offset1:10
	ds_read2_b64 v[24:27], v36 offset0:20 offset1:30
	ds_read_b64 v[8:9], v36 offset:320
	v_lshl_add_u32 v34, v31, 3, v33
	s_waitcnt vmcnt(1) lgkmcnt(2)
	v_mul_f32_e32 v37, v23, v5
	v_mul_f32_e32 v38, v22, v5
	s_waitcnt lgkmcnt(1)
	v_mul_f32_e32 v39, v25, v7
	v_mul_f32_e32 v40, v24, v7
	s_waitcnt vmcnt(0)
	v_mul_f32_e32 v41, v27, v1
	v_mul_f32_e32 v42, v26, v1
	s_waitcnt lgkmcnt(0)
	v_mul_f32_e32 v43, v9, v3
	v_mul_f32_e32 v44, v8, v3
	v_fma_f32 v22, v22, v4, -v37
	v_fmac_f32_e32 v38, v23, v4
	v_fma_f32 v23, v24, v6, -v39
	v_fmac_f32_e32 v40, v25, v6
	;; [unrolled: 2-line block ×4, first 2 shown]
	v_add_f32_e32 v8, v20, v22
	v_add_f32_e32 v9, v23, v24
	v_sub_f32_e32 v26, v22, v23
	v_sub_f32_e32 v27, v25, v24
	v_add_f32_e32 v41, v22, v25
	v_add_f32_e32 v46, v21, v38
	;; [unrolled: 1-line block ×4, first 2 shown]
	v_sub_f32_e32 v43, v23, v22
	v_sub_f32_e32 v48, v22, v25
	;; [unrolled: 1-line block ×3, first 2 shown]
	v_add_f32_e32 v54, v8, v23
	v_fma_f32 v8, -0.5, v9, v20
	v_add_f32_e32 v55, v26, v27
	v_fma_f32 v22, -0.5, v41, v20
	;; [unrolled: 2-line block ×3, first 2 shown]
	v_fma_f32 v23, -0.5, v52, v21
	v_sub_f32_e32 v37, v38, v44
	v_sub_f32_e32 v39, v40, v42
	v_mov_b32_e32 v26, v8
	v_mov_b32_e32 v20, v22
	v_add_f32_e32 v41, v27, v42
	v_mov_b32_e32 v27, v9
	v_mov_b32_e32 v21, v23
	v_sub_f32_e32 v45, v24, v25
	v_sub_f32_e32 v50, v38, v40
	;; [unrolled: 1-line block ×5, first 2 shown]
	v_fmac_f32_e32 v8, 0xbf737871, v37
	v_fmac_f32_e32 v22, 0x3f737871, v39
	;; [unrolled: 1-line block ×8, first 2 shown]
	v_add_f32_e32 v43, v43, v45
	v_add_f32_e32 v40, v50, v51
	;; [unrolled: 1-line block ×4, first 2 shown]
	v_fmac_f32_e32 v8, 0xbf167918, v39
	v_fmac_f32_e32 v22, 0xbf167918, v37
	;; [unrolled: 1-line block ×8, first 2 shown]
	v_add_f32_e32 v24, v24, v25
	v_add_f32_e32 v25, v41, v44
	v_fmac_f32_e32 v8, 0x3e9e377a, v55
	v_fmac_f32_e32 v22, 0x3e9e377a, v43
	v_fmac_f32_e32 v9, 0x3e9e377a, v40
	v_fmac_f32_e32 v23, 0x3e9e377a, v38
	v_fmac_f32_e32 v26, 0x3e9e377a, v55
	v_fmac_f32_e32 v20, 0x3e9e377a, v43
	v_fmac_f32_e32 v27, 0x3e9e377a, v40
	v_fmac_f32_e32 v21, 0x3e9e377a, v38
	ds_write2_b64 v34, v[24:25], v[26:27] offset1:10
	ds_write2_b64 v34, v[20:21], v[22:23] offset0:20 offset1:30
	ds_write_b64 v34, v[8:9] offset:320
	s_waitcnt lgkmcnt(0)
	s_barrier
	s_and_saveexec_b64 s[4:5], vcc
	s_cbranch_execz .LBB0_9
; %bb.8:
	global_load_dwordx2 v[41:42], v30, s[6:7] offset:400
	ds_read2_b64 v[37:40], v34 offset1:5
	s_add_u32 s8, s6, 0x190
	s_addc_u32 s9, s7, 0
	s_waitcnt vmcnt(0) lgkmcnt(0)
	v_mul_f32_e32 v43, v38, v42
	v_mul_f32_e32 v46, v37, v42
	v_fma_f32 v45, v37, v41, -v43
	v_fmac_f32_e32 v46, v38, v41
	global_load_dwordx2 v[37:38], v30, s[8:9] offset:40
	ds_read2_b64 v[41:44], v34 offset0:10 offset1:15
	s_waitcnt vmcnt(0)
	v_mul_f32_e32 v47, v40, v38
	v_mul_f32_e32 v48, v39, v38
	v_fma_f32 v47, v39, v37, -v47
	v_fmac_f32_e32 v48, v40, v37
	global_load_dwordx2 v[37:38], v30, s[8:9] offset:80
	ds_write2_b64 v34, v[45:46], v[47:48] offset1:5
	s_waitcnt vmcnt(0) lgkmcnt(1)
	v_mul_f32_e32 v39, v42, v38
	v_mul_f32_e32 v40, v41, v38
	v_fma_f32 v39, v41, v37, -v39
	v_fmac_f32_e32 v40, v42, v37
	global_load_dwordx2 v[37:38], v30, s[8:9] offset:120
	s_waitcnt vmcnt(0)
	v_mul_f32_e32 v41, v44, v38
	v_mul_f32_e32 v42, v43, v38
	v_fma_f32 v41, v43, v37, -v41
	v_fmac_f32_e32 v42, v44, v37
	ds_write2_b64 v34, v[39:40], v[41:42] offset0:10 offset1:15
	global_load_dwordx2 v[41:42], v30, s[8:9] offset:160
	ds_read2_b64 v[37:40], v34 offset0:20 offset1:25
	s_waitcnt vmcnt(0) lgkmcnt(0)
	v_mul_f32_e32 v43, v38, v42
	v_mul_f32_e32 v44, v37, v42
	v_fma_f32 v43, v37, v41, -v43
	v_fmac_f32_e32 v44, v38, v41
	global_load_dwordx2 v[37:38], v30, s[8:9] offset:200
	s_waitcnt vmcnt(0)
	v_mul_f32_e32 v41, v40, v38
	v_mul_f32_e32 v42, v39, v38
	v_fma_f32 v41, v39, v37, -v41
	v_fmac_f32_e32 v42, v40, v37
	ds_write2_b64 v34, v[43:44], v[41:42] offset0:20 offset1:25
	global_load_dwordx2 v[41:42], v30, s[8:9] offset:240
	ds_read2_b64 v[37:40], v34 offset0:30 offset1:35
	;; [unrolled: 14-line block ×3, first 2 shown]
	s_waitcnt vmcnt(0) lgkmcnt(0)
	v_mul_f32_e32 v43, v38, v42
	v_mul_f32_e32 v44, v37, v42
	v_fma_f32 v43, v37, v41, -v43
	v_fmac_f32_e32 v44, v38, v41
	global_load_dwordx2 v[37:38], v30, s[8:9] offset:360
	s_waitcnt vmcnt(0)
	v_mul_f32_e32 v41, v40, v38
	v_mul_f32_e32 v42, v39, v38
	v_fma_f32 v41, v39, v37, -v41
	v_fmac_f32_e32 v42, v40, v37
	ds_write2_b64 v34, v[43:44], v[41:42] offset0:40 offset1:45
.LBB0_9:
	s_or_b64 exec, exec, s[4:5]
	s_waitcnt lgkmcnt(0)
	s_barrier
	s_and_saveexec_b64 s[4:5], vcc
	s_cbranch_execz .LBB0_11
; %bb.10:
	ds_read2_b64 v[24:27], v34 offset1:5
	ds_read2_b64 v[20:23], v34 offset0:10 offset1:15
	ds_read2_b64 v[8:11], v34 offset0:20 offset1:25
	ds_read2_b64 v[12:15], v34 offset0:30 offset1:35
	ds_read2_b64 v[16:19], v34 offset0:40 offset1:45
.LBB0_11:
	s_or_b64 exec, exec, s[4:5]
	s_waitcnt lgkmcnt(0)
	s_barrier
	s_and_saveexec_b64 s[4:5], vcc
	s_cbranch_execz .LBB0_13
; %bb.12:
	v_sub_f32_e32 v37, v21, v9
	v_sub_f32_e32 v38, v17, v13
	v_add_f32_e32 v37, v37, v38
	v_add_f32_e32 v38, v9, v13
	v_fma_f32 v45, -0.5, v38, v25
	v_sub_f32_e32 v38, v22, v10
	v_sub_f32_e32 v40, v18, v14
	v_add_f32_e32 v42, v38, v40
	v_add_f32_e32 v38, v10, v14
	v_fma_f32 v47, -0.5, v38, v26
	;; [unrolled: 5-line block ×5, first 2 shown]
	v_sub_f32_e32 v38, v11, v23
	v_sub_f32_e32 v61, v15, v19
	;; [unrolled: 1-line block ×3, first 2 shown]
	v_add_f32_e32 v61, v38, v61
	v_add_f32_e32 v38, v23, v19
	;; [unrolled: 1-line block ×3, first 2 shown]
	v_sub_f32_e32 v49, v11, v15
	v_add_f32_e32 v11, v23, v11
	v_sub_f32_e32 v52, v22, v18
	v_mov_b32_e32 v53, v51
	v_add_f32_e32 v25, v25, v21
	v_add_f32_e32 v11, v11, v15
	v_mov_b32_e32 v48, v47
	v_fmac_f32_e32 v53, 0xbf737871, v52
	v_sub_f32_e32 v54, v10, v14
	v_add_f32_e32 v25, v25, v9
	v_add_f32_e32 v23, v11, v19
	v_sub_f32_e32 v11, v20, v8
	v_sub_f32_e32 v15, v16, v12
	v_fmac_f32_e32 v48, 0x3f737871, v43
	v_fmac_f32_e32 v53, 0xbf167918, v54
	v_add_f32_e32 v25, v25, v13
	v_add_f32_e32 v11, v11, v15
	;; [unrolled: 1-line block ×3, first 2 shown]
	v_fmac_f32_e32 v48, 0x3f167918, v49
	v_fmac_f32_e32 v53, 0x3e9e377a, v50
	v_fma_f32 v62, -0.5, v38, v27
	v_add_f32_e32 v25, v25, v17
	v_fma_f32 v27, -0.5, v15, v24
	v_sub_f32_e32 v15, v21, v17
	v_sub_f32_e32 v9, v9, v13
	;; [unrolled: 1-line block ×4, first 2 shown]
	v_fmac_f32_e32 v48, 0x3e9e377a, v42
	v_mul_f32_e32 v55, 0xbf4f1bbd, v53
	v_mov_b32_e32 v63, v62
	v_mul_f32_e32 v21, 0xbf167918, v53
	v_add_f32_e32 v13, v13, v17
	v_add_f32_e32 v17, v20, v16
	v_fmac_f32_e32 v55, 0x3f167918, v48
	v_fmac_f32_e32 v63, 0x3f737871, v54
	;; [unrolled: 1-line block ×4, first 2 shown]
	v_fma_f32 v48, -0.5, v17, v24
	v_mov_b32_e32 v53, v27
	v_fmac_f32_e32 v63, 0xbf167918, v52
	v_fmac_f32_e32 v62, 0x3f167918, v52
	;; [unrolled: 1-line block ×3, first 2 shown]
	v_mov_b32_e32 v52, v48
	v_fmac_f32_e32 v53, 0x3f737871, v15
	v_fmac_f32_e32 v27, 0xbf737871, v15
	;; [unrolled: 1-line block ×6, first 2 shown]
	v_add_f32_e32 v9, v24, v20
	v_sub_f32_e32 v41, v8, v12
	v_fmac_f32_e32 v47, 0xbf737871, v43
	v_add_f32_e32 v8, v9, v8
	v_fmac_f32_e32 v47, 0xbf167918, v49
	v_add_f32_e32 v8, v8, v12
	v_sub_f32_e32 v39, v20, v16
	v_mov_b32_e32 v60, v59
	v_fmac_f32_e32 v47, 0x3e9e377a, v42
	v_fmac_f32_e32 v51, 0x3f167918, v54
	v_add_f32_e32 v16, v8, v16
	v_add_f32_e32 v8, v26, v22
	v_mov_b32_e32 v46, v45
	v_mov_b32_e32 v57, v56
	v_fmac_f32_e32 v60, 0xbf737871, v49
	v_fmac_f32_e32 v59, 0x3f737871, v49
	;; [unrolled: 1-line block ×3, first 2 shown]
	v_mul_f32_e32 v49, 0x3f167918, v47
	v_fmac_f32_e32 v51, 0x3e9e377a, v50
	v_add_f32_e32 v8, v8, v10
	v_fmac_f32_e32 v46, 0xbf737871, v39
	v_fmac_f32_e32 v57, 0x3f737871, v41
	;; [unrolled: 1-line block ×9, first 2 shown]
	v_mul_f32_e32 v51, 0xbf167918, v51
	v_add_f32_e32 v8, v8, v14
	v_fmac_f32_e32 v46, 0xbf167918, v41
	v_fmac_f32_e32 v57, 0xbf167918, v39
	;; [unrolled: 1-line block ×3, first 2 shown]
	v_mul_f32_e32 v64, 0xbe9e377a, v63
	v_fmac_f32_e32 v56, 0x3f167918, v39
	v_fmac_f32_e32 v59, 0x3e9e377a, v58
	v_mul_f32_e32 v58, 0x3e9e377a, v62
	v_fmac_f32_e32 v45, 0x3e9e377a, v37
	v_mul_f32_e32 v50, 0xbf737871, v63
	v_fmac_f32_e32 v52, 0x3f167918, v15
	v_fmac_f32_e32 v48, 0xbf167918, v15
	v_mul_f32_e32 v54, 0xbf737871, v62
	v_fmac_f32_e32 v27, 0x3e9e377a, v11
	v_fmac_f32_e32 v51, 0x3f4f1bbd, v47
	v_add_f32_e32 v20, v8, v18
	v_fmac_f32_e32 v46, 0x3e9e377a, v37
	v_fmac_f32_e32 v57, 0x3e9e377a, v44
	;; [unrolled: 1-line block ×10, first 2 shown]
	v_sub_f32_e32 v10, v16, v20
	v_add_f32_e32 v19, v45, v49
	v_add_f32_e32 v17, v25, v23
	;; [unrolled: 1-line block ×4, first 2 shown]
	v_lshl_add_u32 v20, v35, 3, v33
	v_sub_f32_e32 v40, v46, v55
	v_sub_f32_e32 v38, v57, v64
	;; [unrolled: 1-line block ×9, first 2 shown]
	v_add_f32_e32 v9, v46, v55
	v_add_f32_e32 v15, v57, v64
	;; [unrolled: 1-line block ×6, first 2 shown]
	ds_write_b128 v20, v[16:19]
	ds_write_b128 v20, v[12:15] offset:16
	ds_write_b128 v20, v[8:11] offset:32
	;; [unrolled: 1-line block ×4, first 2 shown]
.LBB0_13:
	s_or_b64 exec, exec, s[4:5]
	s_waitcnt lgkmcnt(0)
	s_barrier
	ds_read2_b64 v[8:11], v36 offset1:10
	ds_read2_b64 v[12:15], v36 offset0:20 offset1:30
	ds_read_b64 v[16:17], v36 offset:320
	s_waitcnt lgkmcnt(2)
	v_mul_f32_e32 v18, v5, v11
	v_mul_f32_e32 v5, v5, v10
	v_fmac_f32_e32 v18, v4, v10
	v_fma_f32 v10, v4, v11, -v5
	s_waitcnt lgkmcnt(1)
	v_mul_f32_e32 v11, v7, v13
	v_mul_f32_e32 v4, v7, v12
	;; [unrolled: 1-line block ×3, first 2 shown]
	v_fmac_f32_e32 v11, v6, v12
	v_fmac_f32_e32 v7, v0, v14
	v_mul_f32_e32 v1, v1, v14
	v_fma_f32 v12, v6, v13, -v4
	v_fma_f32 v13, v0, v15, -v1
	s_waitcnt lgkmcnt(0)
	v_mul_f32_e32 v5, v3, v17
	v_mul_f32_e32 v0, v3, v16
	v_add_f32_e32 v1, v11, v7
	v_fmac_f32_e32 v5, v2, v16
	v_fma_f32 v14, v2, v17, -v0
	v_fma_f32 v2, -0.5, v1, v8
	v_sub_f32_e32 v1, v10, v14
	v_mov_b32_e32 v4, v2
	v_fmac_f32_e32 v4, 0xbf737871, v1
	v_sub_f32_e32 v3, v12, v13
	v_sub_f32_e32 v6, v18, v11
	;; [unrolled: 1-line block ×3, first 2 shown]
	v_fmac_f32_e32 v2, 0x3f737871, v1
	v_fmac_f32_e32 v4, 0xbf167918, v3
	v_add_f32_e32 v6, v6, v15
	v_fmac_f32_e32 v2, 0x3f167918, v3
	v_fmac_f32_e32 v4, 0x3e9e377a, v6
	v_fmac_f32_e32 v2, 0x3e9e377a, v6
	v_add_f32_e32 v6, v18, v5
	v_fma_f32 v6, -0.5, v6, v8
	v_add_f32_e32 v0, v8, v18
	v_mov_b32_e32 v8, v6
	v_add_f32_e32 v0, v0, v11
	v_fmac_f32_e32 v8, 0x3f737871, v3
	v_sub_f32_e32 v15, v11, v18
	v_sub_f32_e32 v16, v7, v5
	v_fmac_f32_e32 v6, 0xbf737871, v3
	v_add_f32_e32 v3, v12, v13
	v_add_f32_e32 v0, v0, v7
	v_fmac_f32_e32 v8, 0xbf167918, v1
	v_add_f32_e32 v15, v15, v16
	v_fmac_f32_e32 v6, 0x3f167918, v1
	v_fma_f32 v3, -0.5, v3, v9
	v_add_f32_e32 v0, v0, v5
	v_fmac_f32_e32 v8, 0x3e9e377a, v15
	v_fmac_f32_e32 v6, 0x3e9e377a, v15
	v_sub_f32_e32 v15, v18, v5
	v_mov_b32_e32 v5, v3
	v_fmac_f32_e32 v5, 0x3f737871, v15
	v_sub_f32_e32 v11, v11, v7
	v_sub_f32_e32 v7, v10, v12
	;; [unrolled: 1-line block ×3, first 2 shown]
	v_fmac_f32_e32 v3, 0xbf737871, v15
	v_fmac_f32_e32 v5, 0x3f167918, v11
	v_add_f32_e32 v7, v7, v16
	v_fmac_f32_e32 v3, 0xbf167918, v11
	v_fmac_f32_e32 v5, 0x3e9e377a, v7
	;; [unrolled: 1-line block ×3, first 2 shown]
	v_add_f32_e32 v7, v10, v14
	v_add_f32_e32 v1, v9, v10
	v_fma_f32 v7, -0.5, v7, v9
	v_add_f32_e32 v1, v1, v12
	v_mov_b32_e32 v9, v7
	v_add_f32_e32 v1, v1, v13
	v_fmac_f32_e32 v9, 0xbf737871, v11
	v_sub_f32_e32 v10, v12, v10
	v_sub_f32_e32 v12, v13, v14
	v_fmac_f32_e32 v7, 0x3f737871, v11
	v_add_f32_e32 v1, v1, v14
	v_fmac_f32_e32 v9, 0x3f167918, v15
	v_add_f32_e32 v10, v10, v12
	v_fmac_f32_e32 v7, 0xbf167918, v15
	v_fmac_f32_e32 v9, 0x3e9e377a, v10
	;; [unrolled: 1-line block ×3, first 2 shown]
	ds_write2_b64 v34, v[0:1], v[4:5] offset1:10
	ds_write2_b64 v34, v[8:9], v[6:7] offset0:20 offset1:30
	ds_write_b64 v34, v[2:3] offset:320
	s_waitcnt lgkmcnt(0)
	s_barrier
	s_and_b64 exec, exec, vcc
	s_cbranch_execz .LBB0_15
; %bb.14:
	global_load_dwordx2 v[8:9], v30, s[6:7]
	global_load_dwordx2 v[10:11], v30, s[6:7] offset:40
	global_load_dwordx2 v[12:13], v30, s[6:7] offset:80
	;; [unrolled: 1-line block ×7, first 2 shown]
	v_mad_u64_u32 v[18:19], s[4:5], s2, v28, 0
	v_mad_u64_u32 v[20:21], s[8:9], s0, v31, 0
	s_mul_i32 s8, s1, 40
	s_mul_hi_u32 s9, s0, 40
	s_add_i32 s10, s9, s8
	v_mad_u64_u32 v[36:37], s[8:9], s3, v28, v[19:20]
	v_mov_b32_e32 v39, s13
	v_lshl_add_u32 v42, v32, 3, v30
	v_mov_b32_e32 v19, v36
	v_lshlrev_b64 v[18:19], 3, v[18:19]
	ds_read2_b64 v[0:3], v42 offset0:5 offset1:10
	v_add_co_u32_e32 v43, vcc, s12, v18
	v_addc_co_u32_e32 v44, vcc, v39, v19, vcc
	ds_read2_b64 v[4:7], v42 offset0:15 offset1:20
	ds_read_b64 v[32:33], v34
	ds_read_b64 v[34:35], v42 offset:360
	s_mul_i32 s2, s0, 40
	v_mov_b32_e32 v28, s10
	s_mov_b32 s4, 0x47ae147b
	s_mov_b32 s5, 0x3f947ae1
	s_waitcnt vmcnt(2)
	v_mad_u64_u32 v[37:38], s[8:9], s1, v31, v[21:22]
	v_mov_b32_e32 v31, s10
	s_waitcnt lgkmcnt(3)
	v_mul_f32_e32 v38, v3, v13
	v_mov_b32_e32 v21, v37
	v_lshlrev_b64 v[20:21], 3, v[20:21]
	s_waitcnt lgkmcnt(2)
	v_mul_f32_e32 v39, v5, v15
	v_add_co_u32_e32 v18, vcc, v43, v20
	v_addc_co_u32_e32 v19, vcc, v44, v21, vcc
	v_add_co_u32_e32 v20, vcc, s2, v18
	v_addc_co_u32_e32 v21, vcc, v19, v28, vcc
	v_add_co_u32_e32 v36, vcc, s2, v20
	s_waitcnt lgkmcnt(1)
	v_mul_f32_e32 v28, v33, v9
	v_mul_f32_e32 v9, v32, v9
	;; [unrolled: 1-line block ×3, first 2 shown]
	v_addc_co_u32_e32 v37, vcc, v21, v31, vcc
	v_mul_f32_e32 v31, v1, v11
	v_mul_f32_e32 v11, v0, v11
	;; [unrolled: 1-line block ×4, first 2 shown]
	v_fmac_f32_e32 v28, v32, v8
	v_fma_f32 v8, v8, v33, -v9
	v_fmac_f32_e32 v38, v2, v12
	v_fmac_f32_e32 v39, v4, v14
	;; [unrolled: 1-line block ×4, first 2 shown]
	v_fma_f32 v9, v10, v1, -v11
	v_fma_f32 v12, v12, v3, -v13
	;; [unrolled: 1-line block ×3, first 2 shown]
	v_cvt_f64_f32_e32 v[0:1], v28
	v_cvt_f64_f32_e32 v[2:3], v8
	;; [unrolled: 1-line block ×5, first 2 shown]
	global_load_dwordx2 v[40:41], v30, s[6:7] offset:320
	v_cvt_f64_f32_e32 v[4:5], v31
	v_cvt_f64_f32_e32 v[8:9], v9
	;; [unrolled: 1-line block ×3, first 2 shown]
	v_mul_f64 v[0:1], v[0:1], s[4:5]
	v_mul_f64 v[2:3], v[2:3], s[4:5]
	;; [unrolled: 1-line block ×6, first 2 shown]
	v_cvt_f64_f32_e32 v[31:32], v32
	v_mul_f64 v[14:15], v[14:15], s[4:5]
	v_cvt_f32_f64_e32 v0, v[0:1]
	v_cvt_f32_f64_e32 v1, v[2:3]
	;; [unrolled: 1-line block ×6, first 2 shown]
	global_store_dwordx2 v[18:19], v[0:1], off
	global_store_dwordx2 v[20:21], v[2:3], off
	;; [unrolled: 1-line block ×3, first 2 shown]
	v_mul_f32_e32 v0, v6, v17
	v_fma_f32 v0, v16, v7, -v0
	global_load_dwordx2 v[6:7], v30, s[6:7] offset:360
	v_mul_f64 v[31:32], v[31:32], s[4:5]
	v_cvt_f64_f32_e32 v[0:1], v0
	v_cvt_f32_f64_e32 v8, v[14:15]
	v_mul_f64 v[4:5], v[38:39], s[4:5]
	v_mov_b32_e32 v13, s10
	v_mul_f64 v[10:11], v[0:1], s[4:5]
	ds_read2_b64 v[0:3], v42 offset0:25 offset1:30
	v_add_co_u32_e32 v12, vcc, s2, v36
	v_cvt_f32_f64_e32 v9, v[31:32]
	v_addc_co_u32_e32 v13, vcc, v37, v13, vcc
	v_cvt_f32_f64_e32 v4, v[4:5]
	global_store_dwordx2 v[12:13], v[8:9], off
	s_waitcnt lgkmcnt(0)
	v_mul_f32_e32 v8, v1, v23
	v_fmac_f32_e32 v8, v0, v22
	v_mul_f32_e32 v0, v0, v23
	v_fma_f32 v0, v22, v1, -v0
	v_cvt_f64_f32_e32 v[8:9], v8
	v_cvt_f64_f32_e32 v[0:1], v0
	v_cvt_f32_f64_e32 v5, v[10:11]
	v_mov_b32_e32 v11, s10
	v_add_co_u32_e32 v10, vcc, s2, v12
	v_mul_f64 v[8:9], v[8:9], s[4:5]
	v_addc_co_u32_e32 v11, vcc, v13, v11, vcc
	v_mul_f64 v[0:1], v[0:1], s[4:5]
	global_store_dwordx2 v[10:11], v[4:5], off
	s_waitcnt vmcnt(8)
	v_mul_f32_e32 v5, v3, v25
	v_fmac_f32_e32 v5, v2, v24
	v_mul_f32_e32 v2, v2, v25
	v_fma_f32 v2, v24, v3, -v2
	v_cvt_f64_f32_e32 v[2:3], v2
	v_cvt_f32_f64_e32 v4, v[8:9]
	v_cvt_f64_f32_e32 v[8:9], v5
	v_cvt_f32_f64_e32 v5, v[0:1]
	v_mul_f64 v[12:13], v[2:3], s[4:5]
	ds_read2_b64 v[0:3], v42 offset0:35 offset1:40
	v_mov_b32_e32 v14, s10
	v_add_co_u32_e32 v10, vcc, s2, v10
	v_addc_co_u32_e32 v11, vcc, v11, v14, vcc
	global_store_dwordx2 v[10:11], v[4:5], off
	s_waitcnt vmcnt(8) lgkmcnt(0)
	v_mul_f32_e32 v4, v1, v27
	v_fmac_f32_e32 v4, v0, v26
	v_cvt_f64_f32_e32 v[4:5], v4
	v_mul_f64 v[8:9], v[8:9], s[4:5]
	v_mul_f32_e32 v0, v0, v27
	v_fma_f32 v0, v26, v1, -v0
	v_mul_f64 v[4:5], v[4:5], s[4:5]
	v_cvt_f64_f32_e32 v[0:1], v0
	v_add_co_u32_e32 v10, vcc, s2, v10
	v_cvt_f32_f64_e32 v8, v[8:9]
	v_cvt_f32_f64_e32 v9, v[12:13]
	v_mul_f64 v[0:1], v[0:1], s[4:5]
	v_cvt_f32_f64_e32 v4, v[4:5]
	s_waitcnt vmcnt(7)
	v_mul_f32_e32 v5, v3, v41
	v_mov_b32_e32 v12, s10
	v_fmac_f32_e32 v5, v2, v40
	v_mul_f32_e32 v2, v2, v41
	v_addc_co_u32_e32 v11, vcc, v11, v12, vcc
	v_fma_f32 v2, v40, v3, -v2
	global_store_dwordx2 v[10:11], v[8:9], off
	v_cvt_f64_f32_e32 v[8:9], v5
	v_cvt_f64_f32_e32 v[2:3], v2
	v_cvt_f32_f64_e32 v5, v[0:1]
	v_mul_f64 v[0:1], v[8:9], s[4:5]
	v_mul_f64 v[2:3], v[2:3], s[4:5]
	v_add_co_u32_e32 v8, vcc, s2, v10
	v_addc_co_u32_e32 v9, vcc, v11, v12, vcc
	v_mad_u64_u32 v[10:11], s[2:3], s0, v29, 0
	v_cvt_f32_f64_e32 v0, v[0:1]
	v_cvt_f32_f64_e32 v1, v[2:3]
	v_mov_b32_e32 v2, v11
	v_mad_u64_u32 v[2:3], s[2:3], s1, v29, v[2:3]
	s_waitcnt vmcnt(4)
	v_mul_f32_e32 v3, v35, v7
	v_fmac_f32_e32 v3, v34, v6
	global_store_dwordx2 v[8:9], v[4:5], off
	v_cvt_f64_f32_e32 v[3:4], v3
	v_mul_f32_e32 v5, v34, v7
	v_fma_f32 v5, v6, v35, -v5
	v_cvt_f64_f32_e32 v[5:6], v5
	v_mul_f64 v[3:4], v[3:4], s[4:5]
	v_mov_b32_e32 v11, v2
	v_lshlrev_b64 v[10:11], 3, v[10:11]
	v_mul_f64 v[5:6], v[5:6], s[4:5]
	v_add_co_u32_e32 v10, vcc, v43, v10
	v_addc_co_u32_e32 v11, vcc, v44, v11, vcc
	v_cvt_f32_f64_e32 v2, v[3:4]
	v_mov_b32_e32 v3, 0x50
	v_mad_u64_u32 v[7:8], s[2:3], s0, v3, v[8:9]
	v_cvt_f32_f64_e32 v3, v[5:6]
	s_mul_i32 s0, s1, 0x50
	v_add_u32_e32 v8, s0, v8
	global_store_dwordx2 v[10:11], v[0:1], off
	global_store_dwordx2 v[7:8], v[2:3], off
.LBB0_15:
	s_endpgm
	.section	.rodata,"a",@progbits
	.p2align	6, 0x0
	.amdhsa_kernel bluestein_single_back_len50_dim1_sp_op_CI_CI
		.amdhsa_group_segment_fixed_size 10000
		.amdhsa_private_segment_fixed_size 0
		.amdhsa_kernarg_size 104
		.amdhsa_user_sgpr_count 6
		.amdhsa_user_sgpr_private_segment_buffer 1
		.amdhsa_user_sgpr_dispatch_ptr 0
		.amdhsa_user_sgpr_queue_ptr 0
		.amdhsa_user_sgpr_kernarg_segment_ptr 1
		.amdhsa_user_sgpr_dispatch_id 0
		.amdhsa_user_sgpr_flat_scratch_init 0
		.amdhsa_user_sgpr_private_segment_size 0
		.amdhsa_uses_dynamic_stack 0
		.amdhsa_system_sgpr_private_segment_wavefront_offset 0
		.amdhsa_system_sgpr_workgroup_id_x 1
		.amdhsa_system_sgpr_workgroup_id_y 0
		.amdhsa_system_sgpr_workgroup_id_z 0
		.amdhsa_system_sgpr_workgroup_info 0
		.amdhsa_system_vgpr_workitem_id 0
		.amdhsa_next_free_vgpr 65
		.amdhsa_next_free_sgpr 16
		.amdhsa_reserve_vcc 1
		.amdhsa_reserve_flat_scratch 0
		.amdhsa_float_round_mode_32 0
		.amdhsa_float_round_mode_16_64 0
		.amdhsa_float_denorm_mode_32 3
		.amdhsa_float_denorm_mode_16_64 3
		.amdhsa_dx10_clamp 1
		.amdhsa_ieee_mode 1
		.amdhsa_fp16_overflow 0
		.amdhsa_exception_fp_ieee_invalid_op 0
		.amdhsa_exception_fp_denorm_src 0
		.amdhsa_exception_fp_ieee_div_zero 0
		.amdhsa_exception_fp_ieee_overflow 0
		.amdhsa_exception_fp_ieee_underflow 0
		.amdhsa_exception_fp_ieee_inexact 0
		.amdhsa_exception_int_div_zero 0
	.end_amdhsa_kernel
	.text
.Lfunc_end0:
	.size	bluestein_single_back_len50_dim1_sp_op_CI_CI, .Lfunc_end0-bluestein_single_back_len50_dim1_sp_op_CI_CI
                                        ; -- End function
	.section	.AMDGPU.csdata,"",@progbits
; Kernel info:
; codeLenInByte = 5612
; NumSgprs: 20
; NumVgprs: 65
; ScratchSize: 0
; MemoryBound: 0
; FloatMode: 240
; IeeeMode: 1
; LDSByteSize: 10000 bytes/workgroup (compile time only)
; SGPRBlocks: 2
; VGPRBlocks: 16
; NumSGPRsForWavesPerEU: 20
; NumVGPRsForWavesPerEU: 65
; Occupancy: 3
; WaveLimiterHint : 1
; COMPUTE_PGM_RSRC2:SCRATCH_EN: 0
; COMPUTE_PGM_RSRC2:USER_SGPR: 6
; COMPUTE_PGM_RSRC2:TRAP_HANDLER: 0
; COMPUTE_PGM_RSRC2:TGID_X_EN: 1
; COMPUTE_PGM_RSRC2:TGID_Y_EN: 0
; COMPUTE_PGM_RSRC2:TGID_Z_EN: 0
; COMPUTE_PGM_RSRC2:TIDIG_COMP_CNT: 0
	.type	__hip_cuid_10c49b5585800c0d,@object ; @__hip_cuid_10c49b5585800c0d
	.section	.bss,"aw",@nobits
	.globl	__hip_cuid_10c49b5585800c0d
__hip_cuid_10c49b5585800c0d:
	.byte	0                               ; 0x0
	.size	__hip_cuid_10c49b5585800c0d, 1

	.ident	"AMD clang version 19.0.0git (https://github.com/RadeonOpenCompute/llvm-project roc-6.4.0 25133 c7fe45cf4b819c5991fe208aaa96edf142730f1d)"
	.section	".note.GNU-stack","",@progbits
	.addrsig
	.addrsig_sym __hip_cuid_10c49b5585800c0d
	.amdgpu_metadata
---
amdhsa.kernels:
  - .args:
      - .actual_access:  read_only
        .address_space:  global
        .offset:         0
        .size:           8
        .value_kind:     global_buffer
      - .actual_access:  read_only
        .address_space:  global
        .offset:         8
        .size:           8
        .value_kind:     global_buffer
      - .actual_access:  read_only
        .address_space:  global
        .offset:         16
        .size:           8
        .value_kind:     global_buffer
      - .actual_access:  read_only
        .address_space:  global
        .offset:         24
        .size:           8
        .value_kind:     global_buffer
      - .actual_access:  read_only
        .address_space:  global
        .offset:         32
        .size:           8
        .value_kind:     global_buffer
      - .offset:         40
        .size:           8
        .value_kind:     by_value
      - .address_space:  global
        .offset:         48
        .size:           8
        .value_kind:     global_buffer
      - .address_space:  global
        .offset:         56
        .size:           8
        .value_kind:     global_buffer
      - .address_space:  global
        .offset:         64
        .size:           8
        .value_kind:     global_buffer
      - .address_space:  global
        .offset:         72
        .size:           8
        .value_kind:     global_buffer
      - .offset:         80
        .size:           4
        .value_kind:     by_value
      - .address_space:  global
        .offset:         88
        .size:           8
        .value_kind:     global_buffer
      - .address_space:  global
        .offset:         96
        .size:           8
        .value_kind:     global_buffer
    .group_segment_fixed_size: 10000
    .kernarg_segment_align: 8
    .kernarg_segment_size: 104
    .language:       OpenCL C
    .language_version:
      - 2
      - 0
    .max_flat_workgroup_size: 250
    .name:           bluestein_single_back_len50_dim1_sp_op_CI_CI
    .private_segment_fixed_size: 0
    .sgpr_count:     20
    .sgpr_spill_count: 0
    .symbol:         bluestein_single_back_len50_dim1_sp_op_CI_CI.kd
    .uniform_work_group_size: 1
    .uses_dynamic_stack: false
    .vgpr_count:     65
    .vgpr_spill_count: 0
    .wavefront_size: 64
amdhsa.target:   amdgcn-amd-amdhsa--gfx906
amdhsa.version:
  - 1
  - 2
...

	.end_amdgpu_metadata
